;; amdgpu-corpus repo=ROCm/rocFFT kind=compiled arch=gfx906 opt=O3
	.text
	.amdgcn_target "amdgcn-amd-amdhsa--gfx906"
	.amdhsa_code_object_version 6
	.protected	fft_rtc_fwd_len208_factors_13_16_wgs_144_tpt_16_sp_ip_CI_sbcc_twdbase5_3step_dirReg_intrinsicReadWrite ; -- Begin function fft_rtc_fwd_len208_factors_13_16_wgs_144_tpt_16_sp_ip_CI_sbcc_twdbase5_3step_dirReg_intrinsicReadWrite
	.globl	fft_rtc_fwd_len208_factors_13_16_wgs_144_tpt_16_sp_ip_CI_sbcc_twdbase5_3step_dirReg_intrinsicReadWrite
	.p2align	8
	.type	fft_rtc_fwd_len208_factors_13_16_wgs_144_tpt_16_sp_ip_CI_sbcc_twdbase5_3step_dirReg_intrinsicReadWrite,@function
fft_rtc_fwd_len208_factors_13_16_wgs_144_tpt_16_sp_ip_CI_sbcc_twdbase5_3step_dirReg_intrinsicReadWrite: ; @fft_rtc_fwd_len208_factors_13_16_wgs_144_tpt_16_sp_ip_CI_sbcc_twdbase5_3step_dirReg_intrinsicReadWrite
; %bb.0:
	s_load_dwordx8 s[8:15], s[4:5], 0x8
	s_movk_i32 s0, 0x60
	v_cmp_gt_u32_e32 vcc, s0, v0
	s_and_saveexec_b64 s[0:1], vcc
	s_cbranch_execz .LBB0_2
; %bb.1:
	v_lshlrev_b32_e32 v3, 3, v0
	s_waitcnt lgkmcnt(0)
	global_load_dwordx2 v[1:2], v3, s[8:9]
	v_add_u32_e32 v3, 0, v3
	s_waitcnt vmcnt(0)
	ds_write_b64 v3, v[1:2] offset:14976
.LBB0_2:
	s_or_b64 exec, exec, s[0:1]
	s_waitcnt lgkmcnt(0)
	s_load_dwordx2 s[2:3], s[12:13], 0x8
	s_mov_b32 s7, 0
	s_mov_b64 s[24:25], 0
	s_waitcnt lgkmcnt(0)
	s_add_u32 s0, s2, -1
	s_addc_u32 s1, s3, -1
	s_add_u32 s8, 0, 0x71c4fc00
	s_addc_u32 s9, 0, 0x7c
	s_mul_hi_u32 s17, s8, -9
	s_add_i32 s9, s9, 0x1c71c6a0
	s_sub_i32 s17, s17, s8
	s_mul_i32 s20, s9, -9
	s_mul_i32 s16, s8, -9
	s_add_i32 s17, s17, s20
	s_mul_hi_u32 s18, s9, s16
	s_mul_i32 s19, s9, s16
	s_mul_i32 s21, s8, s17
	s_mul_hi_u32 s16, s8, s16
	s_mul_hi_u32 s20, s8, s17
	s_add_u32 s16, s16, s21
	s_addc_u32 s20, 0, s20
	s_add_u32 s16, s16, s19
	s_mul_hi_u32 s21, s9, s17
	s_addc_u32 s16, s20, s18
	s_addc_u32 s18, s21, 0
	s_mul_i32 s17, s9, s17
	s_add_u32 s16, s16, s17
	v_mov_b32_e32 v1, s16
	s_addc_u32 s17, 0, s18
	v_add_co_u32_e32 v1, vcc, s8, v1
	s_cmp_lg_u64 vcc, 0
	s_addc_u32 s8, s9, s17
	v_readfirstlane_b32 s17, v1
	s_mul_i32 s16, s0, s8
	s_mul_hi_u32 s18, s0, s17
	s_mul_hi_u32 s9, s0, s8
	s_add_u32 s16, s18, s16
	s_addc_u32 s9, 0, s9
	s_mul_hi_u32 s19, s1, s17
	s_mul_i32 s17, s1, s17
	s_add_u32 s16, s16, s17
	s_mul_hi_u32 s18, s1, s8
	s_addc_u32 s9, s9, s19
	s_addc_u32 s16, s18, 0
	s_mul_i32 s8, s1, s8
	s_add_u32 s8, s9, s8
	s_addc_u32 s9, 0, s16
	s_add_u32 s16, s8, 1
	s_addc_u32 s17, s9, 0
	s_add_u32 s18, s8, 2
	s_mul_i32 s20, s9, 9
	s_mul_hi_u32 s21, s8, 9
	s_addc_u32 s19, s9, 0
	s_add_i32 s21, s21, s20
	s_mul_i32 s20, s8, 9
	v_mov_b32_e32 v1, s20
	v_sub_co_u32_e32 v1, vcc, s0, v1
	s_cmp_lg_u64 vcc, 0
	s_subb_u32 s0, s1, s21
	v_subrev_co_u32_e32 v2, vcc, 9, v1
	s_cmp_lg_u64 vcc, 0
	s_subb_u32 s1, s0, 0
	v_readfirstlane_b32 s20, v2
	s_cmp_gt_u32 s20, 8
	s_cselect_b32 s20, -1, 0
	s_cmp_eq_u32 s1, 0
	s_cselect_b32 s1, s20, -1
	s_cmp_lg_u32 s1, 0
	s_cselect_b32 s1, s18, s16
	s_cselect_b32 s16, s19, s17
	v_readfirstlane_b32 s17, v1
	s_cmp_gt_u32 s17, 8
	s_cselect_b32 s17, -1, 0
	s_cmp_eq_u32 s0, 0
	s_cselect_b32 s0, s17, -1
	s_cmp_lg_u32 s0, 0
	s_cselect_b32 s1, s1, s8
	s_cselect_b32 s0, s16, s9
	s_add_u32 s22, s1, 1
	s_addc_u32 s23, s0, 0
	v_mov_b32_e32 v1, s22
	v_mov_b32_e32 v2, s23
	v_cmp_lt_u64_e32 vcc, s[6:7], v[1:2]
	s_cbranch_vccnz .LBB0_4
; %bb.3:
	v_cvt_f32_u32_e32 v1, s22
	s_sub_i32 s0, 0, s22
	s_mov_b32 s25, s7
	v_rcp_iflag_f32_e32 v1, v1
	v_mul_f32_e32 v1, 0x4f7ffffe, v1
	v_cvt_u32_f32_e32 v1, v1
	v_readfirstlane_b32 s1, v1
	s_mul_i32 s0, s0, s1
	s_mul_hi_u32 s0, s1, s0
	s_add_i32 s1, s1, s0
	s_mul_hi_u32 s0, s6, s1
	s_mul_i32 s8, s0, s22
	s_sub_i32 s8, s6, s8
	s_add_i32 s1, s0, 1
	s_sub_i32 s9, s8, s22
	s_cmp_ge_u32 s8, s22
	s_cselect_b32 s0, s1, s0
	s_cselect_b32 s8, s9, s8
	s_add_i32 s1, s0, 1
	s_cmp_ge_u32 s8, s22
	s_cselect_b32 s24, s1, s0
.LBB0_4:
	s_mul_i32 s0, s24, s23
	s_mul_hi_u32 s1, s24, s22
	s_load_dwordx2 s[8:9], s[4:5], 0x58
	s_load_dwordx2 s[20:21], s[4:5], 0x0
	s_load_dwordx4 s[16:19], s[14:15], 0x0
	s_add_i32 s1, s1, s0
	s_mul_i32 s0, s24, s22
	s_sub_u32 s33, s6, s0
	s_subb_u32 s0, 0, s1
	s_mul_i32 s0, s0, 9
	s_waitcnt lgkmcnt(0)
	s_mul_hi_u32 s17, s33, 9
	s_add_i32 s17, s17, s0
	s_mul_i32 s33, s33, 9
	s_mul_i32 s0, s18, s17
	s_mul_hi_u32 s1, s18, s33
	s_add_i32 s0, s1, s0
	s_mul_i32 s1, s19, s33
	s_add_i32 s36, s0, s1
	v_cmp_lt_u64_e64 s[0:1], s[10:11], 3
	s_mul_i32 s19, s18, s33
	s_and_b64 vcc, exec, s[0:1]
	s_cbranch_vccnz .LBB0_12
; %bb.5:
	s_add_u32 s4, s14, 16
	s_addc_u32 s5, s15, 0
	s_add_u32 s12, s12, 16
	v_mov_b32_e32 v1, s10
	s_addc_u32 s13, s13, 0
	s_mov_b64 s[26:27], 2
	s_mov_b32 s28, 0
	v_mov_b32_e32 v2, s11
.LBB0_6:                                ; =>This Inner Loop Header: Depth=1
	s_load_dwordx2 s[30:31], s[12:13], 0x0
	s_waitcnt lgkmcnt(0)
	s_or_b64 s[0:1], s[24:25], s[30:31]
	s_mov_b32 s29, s1
	s_cmp_lg_u64 s[28:29], 0
	s_cbranch_scc0 .LBB0_11
; %bb.7:                                ;   in Loop: Header=BB0_6 Depth=1
	v_cvt_f32_u32_e32 v3, s30
	v_cvt_f32_u32_e32 v4, s31
	s_sub_u32 s0, 0, s30
	s_subb_u32 s1, 0, s31
	v_mac_f32_e32 v3, 0x4f800000, v4
	v_rcp_f32_e32 v3, v3
	v_mul_f32_e32 v3, 0x5f7ffffc, v3
	v_mul_f32_e32 v4, 0x2f800000, v3
	v_trunc_f32_e32 v4, v4
	v_mac_f32_e32 v3, 0xcf800000, v4
	v_cvt_u32_f32_e32 v4, v4
	v_cvt_u32_f32_e32 v3, v3
	v_readfirstlane_b32 s29, v4
	v_readfirstlane_b32 s34, v3
	s_mul_i32 s35, s0, s29
	s_mul_hi_u32 s38, s0, s34
	s_mul_i32 s37, s1, s34
	s_add_i32 s35, s38, s35
	s_mul_i32 s39, s0, s34
	s_add_i32 s35, s35, s37
	s_mul_hi_u32 s37, s34, s35
	s_mul_i32 s38, s34, s35
	s_mul_hi_u32 s34, s34, s39
	s_add_u32 s34, s34, s38
	s_addc_u32 s37, 0, s37
	s_mul_hi_u32 s40, s29, s39
	s_mul_i32 s39, s29, s39
	s_add_u32 s34, s34, s39
	s_mul_hi_u32 s38, s29, s35
	s_addc_u32 s34, s37, s40
	s_addc_u32 s37, s38, 0
	s_mul_i32 s35, s29, s35
	s_add_u32 s34, s34, s35
	s_addc_u32 s35, 0, s37
	v_add_co_u32_e32 v3, vcc, s34, v3
	s_cmp_lg_u64 vcc, 0
	s_addc_u32 s29, s29, s35
	v_readfirstlane_b32 s35, v3
	s_mul_i32 s34, s0, s29
	s_mul_hi_u32 s37, s0, s35
	s_add_i32 s34, s37, s34
	s_mul_i32 s1, s1, s35
	s_add_i32 s34, s34, s1
	s_mul_i32 s0, s0, s35
	s_mul_hi_u32 s37, s29, s0
	s_mul_i32 s38, s29, s0
	s_mul_i32 s40, s35, s34
	s_mul_hi_u32 s0, s35, s0
	s_mul_hi_u32 s39, s35, s34
	s_add_u32 s0, s0, s40
	s_addc_u32 s35, 0, s39
	s_add_u32 s0, s0, s38
	s_mul_hi_u32 s1, s29, s34
	s_addc_u32 s0, s35, s37
	s_addc_u32 s1, s1, 0
	s_mul_i32 s34, s29, s34
	s_add_u32 s0, s0, s34
	s_addc_u32 s1, 0, s1
	v_add_co_u32_e32 v3, vcc, s0, v3
	s_cmp_lg_u64 vcc, 0
	s_addc_u32 s0, s29, s1
	v_readfirstlane_b32 s34, v3
	s_mul_i32 s29, s24, s0
	s_mul_hi_u32 s35, s24, s34
	s_mul_hi_u32 s1, s24, s0
	s_add_u32 s29, s35, s29
	s_addc_u32 s1, 0, s1
	s_mul_hi_u32 s37, s25, s34
	s_mul_i32 s34, s25, s34
	s_add_u32 s29, s29, s34
	s_mul_hi_u32 s35, s25, s0
	s_addc_u32 s1, s1, s37
	s_addc_u32 s29, s35, 0
	s_mul_i32 s0, s25, s0
	s_add_u32 s34, s1, s0
	s_addc_u32 s29, 0, s29
	s_mul_i32 s0, s30, s29
	s_mul_hi_u32 s1, s30, s34
	s_add_i32 s0, s1, s0
	s_mul_i32 s1, s31, s34
	s_add_i32 s35, s0, s1
	s_mul_i32 s1, s30, s34
	v_mov_b32_e32 v3, s1
	s_sub_i32 s0, s25, s35
	v_sub_co_u32_e32 v3, vcc, s24, v3
	s_cmp_lg_u64 vcc, 0
	s_subb_u32 s37, s0, s31
	v_subrev_co_u32_e64 v4, s[0:1], s30, v3
	s_cmp_lg_u64 s[0:1], 0
	s_subb_u32 s0, s37, 0
	s_cmp_ge_u32 s0, s31
	v_readfirstlane_b32 s37, v4
	s_cselect_b32 s1, -1, 0
	s_cmp_ge_u32 s37, s30
	s_cselect_b32 s37, -1, 0
	s_cmp_eq_u32 s0, s31
	s_cselect_b32 s0, s37, s1
	s_add_u32 s1, s34, 1
	s_addc_u32 s37, s29, 0
	s_add_u32 s38, s34, 2
	s_addc_u32 s39, s29, 0
	s_cmp_lg_u32 s0, 0
	s_cselect_b32 s0, s38, s1
	s_cselect_b32 s1, s39, s37
	s_cmp_lg_u64 vcc, 0
	s_subb_u32 s35, s25, s35
	s_cmp_ge_u32 s35, s31
	v_readfirstlane_b32 s38, v3
	s_cselect_b32 s37, -1, 0
	s_cmp_ge_u32 s38, s30
	s_cselect_b32 s38, -1, 0
	s_cmp_eq_u32 s35, s31
	s_cselect_b32 s35, s38, s37
	s_cmp_lg_u32 s35, 0
	s_cselect_b32 s1, s1, s29
	s_cselect_b32 s0, s0, s34
	s_cbranch_execnz .LBB0_9
.LBB0_8:                                ;   in Loop: Header=BB0_6 Depth=1
	v_cvt_f32_u32_e32 v3, s30
	s_sub_i32 s0, 0, s30
	v_rcp_iflag_f32_e32 v3, v3
	v_mul_f32_e32 v3, 0x4f7ffffe, v3
	v_cvt_u32_f32_e32 v3, v3
	v_readfirstlane_b32 s1, v3
	s_mul_i32 s0, s0, s1
	s_mul_hi_u32 s0, s1, s0
	s_add_i32 s1, s1, s0
	s_mul_hi_u32 s0, s24, s1
	s_mul_i32 s29, s0, s30
	s_sub_i32 s29, s24, s29
	s_add_i32 s1, s0, 1
	s_sub_i32 s34, s29, s30
	s_cmp_ge_u32 s29, s30
	s_cselect_b32 s0, s1, s0
	s_cselect_b32 s29, s34, s29
	s_add_i32 s1, s0, 1
	s_cmp_ge_u32 s29, s30
	s_cselect_b32 s0, s1, s0
	s_mov_b32 s1, s28
.LBB0_9:                                ;   in Loop: Header=BB0_6 Depth=1
	s_mul_i32 s23, s30, s23
	s_mul_hi_u32 s29, s30, s22
	s_add_i32 s23, s29, s23
	s_mul_i32 s29, s31, s22
	s_add_i32 s23, s23, s29
	s_mul_i32 s29, s0, s31
	s_mul_hi_u32 s31, s0, s30
	s_load_dwordx2 s[34:35], s[4:5], 0x0
	s_add_i32 s29, s31, s29
	s_mul_i32 s31, s1, s30
	s_mul_i32 s22, s30, s22
	s_add_i32 s29, s29, s31
	s_mul_i32 s30, s0, s30
	s_sub_u32 s24, s24, s30
	s_subb_u32 s25, s25, s29
	s_waitcnt lgkmcnt(0)
	s_mul_i32 s25, s34, s25
	s_mul_hi_u32 s29, s34, s24
	s_add_i32 s25, s29, s25
	s_mul_i32 s29, s35, s24
	s_add_i32 s25, s25, s29
	s_mul_i32 s24, s34, s24
	s_add_u32 s19, s24, s19
	s_addc_u32 s36, s25, s36
	s_add_u32 s26, s26, 1
	s_addc_u32 s27, s27, 0
	;; [unrolled: 2-line block ×3, first 2 shown]
	v_cmp_ge_u64_e32 vcc, s[26:27], v[1:2]
	s_add_u32 s12, s12, 8
	s_addc_u32 s13, s13, 0
	s_cbranch_vccnz .LBB0_13
; %bb.10:                               ;   in Loop: Header=BB0_6 Depth=1
	s_mov_b64 s[24:25], s[0:1]
	s_branch .LBB0_6
.LBB0_11:                               ;   in Loop: Header=BB0_6 Depth=1
                                        ; implicit-def: $sgpr0_sgpr1
	s_branch .LBB0_8
.LBB0_12:
	v_mov_b32_e32 v1, s24
	v_mov_b32_e32 v2, s25
	s_branch .LBB0_15
.LBB0_13:
	v_mov_b32_e32 v1, s22
	v_mov_b32_e32 v2, s23
	v_cmp_lt_u64_e32 vcc, s[6:7], v[1:2]
	v_mov_b32_e32 v1, 0
	v_mov_b32_e32 v2, 0
	s_cbranch_vccnz .LBB0_15
; %bb.14:
	v_cvt_f32_u32_e32 v1, s22
	s_sub_i32 s0, 0, s22
	v_rcp_iflag_f32_e32 v1, v1
	v_mul_f32_e32 v1, 0x4f7ffffe, v1
	v_cvt_u32_f32_e32 v1, v1
	v_mul_lo_u32 v2, s0, v1
	v_mul_hi_u32 v2, v1, v2
	v_add_u32_e32 v1, v1, v2
	v_mul_hi_u32 v1, s6, v1
	v_mul_lo_u32 v2, v1, s22
	v_add_u32_e32 v3, 1, v1
	v_sub_u32_e32 v2, s6, v2
	v_subrev_u32_e32 v4, s22, v2
	v_cmp_le_u32_e32 vcc, s22, v2
	v_cndmask_b32_e32 v2, v2, v4, vcc
	v_cndmask_b32_e32 v1, v1, v3, vcc
	v_add_u32_e32 v3, 1, v1
	v_cmp_le_u32_e32 vcc, s22, v2
	v_cndmask_b32_e32 v1, v1, v3, vcc
.LBB0_15:
	s_lshl_b64 s[0:1], s[10:11], 3
	s_add_u32 s0, s14, s0
	s_addc_u32 s1, s15, s1
	s_load_dword s0, s[0:1], 0x0
	s_mov_b32 s1, 0x1c71c71d
	v_mul_hi_u32 v37, v0, s1
	v_mov_b32_e32 v2, s17
	s_mov_b32 s11, 0x20000
	s_waitcnt lgkmcnt(0)
	v_mul_lo_u32 v1, s0, v1
	v_mul_u32_u24_e32 v3, 9, v37
	v_sub_u32_e32 v29, v0, v3
	v_mad_u64_u32 v[33:34], s[4:5], s18, v29, 0
	v_mul_lo_u32 v4, s16, v37
	v_add_co_u32_e32 v35, vcc, s33, v29
	v_add_u32_e32 v3, s19, v1
	v_addc_co_u32_e32 v36, vcc, 0, v2, vcc
	s_add_u32 s0, s33, 9
	v_mov_b32_e32 v1, s2
	s_addc_u32 s1, s17, 0
	v_mov_b32_e32 v2, s3
	v_lshlrev_b32_e32 v34, 3, v3
	v_or_b32_e32 v3, 32, v37
	v_cmp_le_u64_e32 vcc, s[0:1], v[1:2]
	v_add_lshl_u32 v1, v33, v4, 3
	v_add_u32_e32 v2, 16, v37
	v_mul_lo_u32 v3, s16, v3
	v_add_u32_e32 v4, 48, v37
	v_mul_lo_u32 v2, s16, v2
	v_mul_lo_u32 v4, s16, v4
	v_cmp_gt_u64_e64 s[0:1], s[2:3], v[35:36]
	v_add_lshl_u32 v3, v33, v3, 3
	s_or_b64 s[2:3], vcc, s[0:1]
	v_cndmask_b32_e64 v1, -1, v1, s[2:3]
	s_mov_b32 s10, -2
	v_readfirstlane_b32 s4, v34
	v_add_lshl_u32 v2, v33, v2, 3
	v_cndmask_b32_e64 v3, -1, v3, s[2:3]
	v_add_lshl_u32 v4, v33, v4, 3
	v_cndmask_b32_e64 v2, -1, v2, s[2:3]
	v_cndmask_b32_e64 v4, -1, v4, s[2:3]
	buffer_load_dwordx2 v[17:18], v1, s[8:11], s4 offen
	buffer_load_dwordx2 v[19:20], v2, s[8:11], s4 offen
	;; [unrolled: 1-line block ×4, first 2 shown]
	v_or_b32_e32 v3, 0x60, v37
	v_mul_lo_u32 v3, s16, v3
	v_add_u32_e32 v4, 0x70, v37
	v_or_b32_e32 v5, 64, v37
	v_mul_lo_u32 v4, s16, v4
	v_mul_lo_u32 v5, s16, v5
	v_add_u32_e32 v6, 0x50, v37
	v_mul_lo_u32 v6, s16, v6
	v_add_lshl_u32 v3, v33, v3, 3
	v_cndmask_b32_e64 v9, -1, v3, s[2:3]
	v_add_lshl_u32 v3, v33, v4, 3
	v_add_lshl_u32 v1, v33, v5, 3
	v_cndmask_b32_e64 v10, -1, v3, s[2:3]
	v_or_b32_e32 v3, 0x80, v37
	v_cndmask_b32_e64 v1, -1, v1, s[2:3]
	v_add_lshl_u32 v2, v33, v6, 3
	v_mul_lo_u32 v13, s16, v3
	v_add_u32_e32 v3, 0x90, v37
	v_cndmask_b32_e64 v2, -1, v2, s[2:3]
	v_mul_lo_u32 v14, s16, v3
	buffer_load_dwordx2 v[11:12], v1, s[8:11], s4 offen
	buffer_load_dwordx2 v[7:8], v2, s[8:11], s4 offen
	;; [unrolled: 1-line block ×4, first 2 shown]
	v_or_b32_e32 v9, 0xa0, v37
	v_mul_lo_u32 v9, s16, v9
	v_add_u32_e32 v10, 0xb0, v37
	v_mul_lo_u32 v10, s16, v10
	v_add_lshl_u32 v1, v33, v13, 3
	v_cndmask_b32_e64 v1, -1, v1, s[2:3]
	v_add_lshl_u32 v9, v33, v9, 3
	v_or_b32_e32 v13, 0xc0, v37
	v_cndmask_b32_e64 v27, -1, v9, s[2:3]
	v_add_lshl_u32 v23, v33, v10, 3
	buffer_load_dwordx2 v[9:10], v1, s[8:11], s4 offen
	v_mul_lo_u32 v1, s16, v13
	v_add_lshl_u32 v2, v33, v14, 3
	v_cndmask_b32_e64 v2, -1, v2, s[2:3]
	buffer_load_dwordx2 v[13:14], v2, s[8:11], s4 offen
	v_add_lshl_u32 v1, v33, v1, 3
	v_cndmask_b32_e64 v1, -1, v1, s[2:3]
	v_cndmask_b32_e64 v2, -1, v23, s[2:3]
	buffer_load_dwordx2 v[23:24], v27, s[8:11], s4 offen
	buffer_load_dwordx2 v[25:26], v2, s[8:11], s4 offen
	s_mov_b32 s6, 0x3f62ad3f
	buffer_load_dwordx2 v[27:28], v1, s[8:11], s4 offen
	s_mov_b32 s4, 0x3f116cb1
	s_mov_b32 s2, 0x3df6dbef
	;; [unrolled: 1-line block ×5, first 2 shown]
	s_waitcnt vmcnt(11)
	v_add_f32_e32 v1, v17, v19
	v_add_f32_e32 v2, v18, v20
	s_waitcnt vmcnt(10)
	v_add_f32_e32 v1, v1, v21
	v_add_f32_e32 v2, v2, v22
	;; [unrolled: 3-line block ×10, first 2 shown]
	s_waitcnt vmcnt(1)
	v_add_f32_e32 v1, v1, v25
	s_waitcnt vmcnt(0)
	v_add_f32_e32 v30, v27, v19
	v_add_f32_e32 v31, v28, v20
	v_sub_f32_e32 v19, v19, v27
	v_sub_f32_e32 v20, v20, v28
	v_add_f32_e32 v2, v2, v26
	v_add_f32_e32 v1, v1, v27
	v_mul_f32_e32 v27, 0xbeedf032, v20
	v_mul_f32_e32 v32, 0xbeedf032, v19
	;; [unrolled: 1-line block ×12, first 2 shown]
	v_add_f32_e32 v2, v2, v28
	v_fma_f32 v28, v30, s6, -v27
	v_mov_b32_e32 v36, v32
	v_fmac_f32_e32 v27, 0x3f62ad3f, v30
	v_fma_f32 v39, v30, s4, -v38
	v_mov_b32_e32 v41, v40
	v_fmac_f32_e32 v38, 0x3f116cb1, v30
	;; [unrolled: 3-line block ×6, first 2 shown]
	v_add_f32_e32 v28, v17, v28
	v_fmac_f32_e32 v36, 0x3f62ad3f, v31
	v_add_f32_e32 v27, v17, v27
	v_fma_f32 v32, v31, s6, -v32
	v_add_f32_e32 v39, v17, v39
	v_fmac_f32_e32 v41, 0x3f116cb1, v31
	v_add_f32_e32 v38, v17, v38
	v_fma_f32 v40, v31, s4, -v40
	v_add_f32_e32 v43, v17, v43
	v_fmac_f32_e32 v45, 0x3df6dbef, v31
	v_add_f32_e32 v42, v17, v42
	v_fma_f32 v44, v31, s2, -v44
	v_add_f32_e32 v47, v17, v47
	v_fmac_f32_e32 v49, 0xbeb58ec6, v31
	v_add_f32_e32 v46, v17, v46
	v_fma_f32 v48, v31, s3, -v48
	v_add_f32_e32 v51, v17, v51
	v_fmac_f32_e32 v53, 0xbf3f9e67, v31
	v_add_f32_e32 v50, v17, v50
	v_fma_f32 v52, v31, s5, -v52
	v_add_f32_e32 v54, v17, v54
	v_fmac_f32_e32 v55, 0xbf788fa5, v31
	v_add_f32_e32 v17, v17, v20
	v_fma_f32 v19, v31, s7, -v19
	v_add_f32_e32 v20, v26, v22
	v_sub_f32_e32 v22, v22, v26
	v_add_f32_e32 v36, v18, v36
	v_add_f32_e32 v32, v18, v32
	;; [unrolled: 1-line block ×13, first 2 shown]
	v_sub_f32_e32 v21, v21, v25
	v_mul_f32_e32 v25, 0xbf52af12, v22
	v_fma_f32 v26, v19, s4, -v25
	v_add_f32_e32 v26, v26, v28
	v_mul_f32_e32 v28, 0xbf52af12, v21
	v_fmac_f32_e32 v25, 0x3f116cb1, v19
	v_mov_b32_e32 v30, v28
	v_add_f32_e32 v25, v25, v27
	v_fma_f32 v27, v20, s4, -v28
	v_mul_f32_e32 v28, 0xbf6f5d39, v22
	v_fmac_f32_e32 v30, 0x3f116cb1, v20
	v_add_f32_e32 v27, v27, v32
	v_fma_f32 v31, v19, s3, -v28
	v_mul_f32_e32 v32, 0xbf6f5d39, v21
	v_fmac_f32_e32 v28, 0xbeb58ec6, v19
	v_add_f32_e32 v30, v30, v36
	v_mov_b32_e32 v36, v32
	v_add_f32_e32 v28, v28, v38
	v_fma_f32 v32, v20, s3, -v32
	v_mul_f32_e32 v38, 0xbe750f2a, v22
	v_add_f32_e32 v31, v31, v39
	v_fmac_f32_e32 v36, 0xbeb58ec6, v20
	v_add_f32_e32 v32, v32, v40
	v_fma_f32 v39, v19, s7, -v38
	v_mul_f32_e32 v40, 0xbe750f2a, v21
	v_fmac_f32_e32 v38, 0xbf788fa5, v19
	v_add_f32_e32 v36, v36, v41
	v_mov_b32_e32 v41, v40
	v_add_f32_e32 v38, v38, v42
	v_fma_f32 v40, v20, s7, -v40
	v_mul_f32_e32 v42, 0x3f29c268, v22
	v_add_f32_e32 v39, v39, v43
	;; [unrolled: 11-line block ×3, first 2 shown]
	v_fmac_f32_e32 v45, 0xbf3f9e67, v20
	v_add_f32_e32 v44, v44, v48
	v_fma_f32 v47, v19, s2, -v46
	v_mul_f32_e32 v48, 0x3f7e222b, v21
	v_mul_f32_e32 v21, 0x3eedf032, v21
	v_add_f32_e32 v45, v45, v49
	v_add_f32_e32 v47, v47, v51
	v_mov_b32_e32 v49, v48
	v_fmac_f32_e32 v46, 0x3df6dbef, v19
	v_mul_f32_e32 v22, 0x3eedf032, v22
	v_mov_b32_e32 v51, v21
	v_fmac_f32_e32 v49, 0x3df6dbef, v20
	v_add_f32_e32 v46, v46, v50
	v_fma_f32 v48, v20, s2, -v48
	v_fma_f32 v50, v19, s6, -v22
	v_fmac_f32_e32 v51, 0x3f62ad3f, v20
	v_fmac_f32_e32 v22, 0x3f62ad3f, v19
	v_fma_f32 v19, v20, s6, -v21
	v_add_f32_e32 v20, v24, v16
	v_sub_f32_e32 v16, v16, v24
	v_add_f32_e32 v18, v19, v18
	v_add_f32_e32 v19, v23, v15
	v_sub_f32_e32 v15, v15, v23
	v_mul_f32_e32 v21, 0xbf7e222b, v16
	v_add_f32_e32 v17, v22, v17
	v_fma_f32 v22, v19, s2, -v21
	v_mul_f32_e32 v23, 0xbf7e222b, v15
	v_fmac_f32_e32 v21, 0x3df6dbef, v19
	v_mov_b32_e32 v24, v23
	v_add_f32_e32 v21, v21, v25
	v_fma_f32 v23, v20, s2, -v23
	v_mul_f32_e32 v25, 0xbe750f2a, v16
	v_add_f32_e32 v22, v22, v26
	v_fmac_f32_e32 v24, 0x3df6dbef, v20
	v_add_f32_e32 v23, v23, v27
	v_fma_f32 v26, v19, s7, -v25
	v_mul_f32_e32 v27, 0xbe750f2a, v15
	v_fmac_f32_e32 v25, 0xbf788fa5, v19
	v_add_f32_e32 v24, v24, v30
	v_mov_b32_e32 v30, v27
	v_add_f32_e32 v25, v25, v28
	v_fma_f32 v27, v20, s7, -v27
	v_mul_f32_e32 v28, 0x3f6f5d39, v16
	v_add_f32_e32 v26, v26, v31
	v_fmac_f32_e32 v30, 0xbf788fa5, v20
	v_add_f32_e32 v27, v27, v32
	v_fma_f32 v31, v19, s3, -v28
	v_mul_f32_e32 v32, 0x3f6f5d39, v15
	v_fmac_f32_e32 v28, 0xbeb58ec6, v19
	v_add_f32_e32 v30, v30, v36
	;; [unrolled: 11-line block ×3, first 2 shown]
	v_mov_b32_e32 v41, v40
	v_add_f32_e32 v38, v38, v42
	v_fma_f32 v40, v20, s6, -v40
	v_mul_f32_e32 v42, 0xbf52af12, v16
	v_add_f32_e32 v39, v39, v43
	v_add_f32_e32 v40, v40, v44
	v_fma_f32 v43, v19, s4, -v42
	v_mul_f32_e32 v44, 0xbf52af12, v15
	v_mul_f32_e32 v15, 0xbf29c268, v15
	v_add_f32_e32 v43, v43, v47
	v_fmac_f32_e32 v42, 0x3f116cb1, v19
	v_mul_f32_e32 v16, 0xbf29c268, v16
	v_mov_b32_e32 v47, v15
	v_fma_f32 v15, v20, s5, -v15
	v_add_f32_e32 v42, v42, v46
	v_fma_f32 v46, v19, s5, -v16
	v_fmac_f32_e32 v16, 0xbf3f9e67, v19
	v_add_f32_e32 v15, v15, v18
	v_add_f32_e32 v18, v14, v12
	v_sub_f32_e32 v12, v12, v14
	v_fmac_f32_e32 v41, 0x3f62ad3f, v20
	v_add_f32_e32 v16, v16, v17
	v_add_f32_e32 v17, v13, v11
	v_sub_f32_e32 v11, v11, v13
	v_mul_f32_e32 v13, 0xbf6f5d39, v12
	v_add_f32_e32 v41, v41, v45
	v_mov_b32_e32 v45, v44
	v_fma_f32 v14, v17, s3, -v13
	v_mul_f32_e32 v19, 0xbf6f5d39, v11
	v_fmac_f32_e32 v13, 0xbeb58ec6, v17
	v_fmac_f32_e32 v45, 0x3f116cb1, v20
	v_fma_f32 v44, v20, s4, -v44
	v_fmac_f32_e32 v47, 0xbf3f9e67, v20
	v_mov_b32_e32 v20, v19
	v_add_f32_e32 v13, v13, v21
	v_fma_f32 v19, v18, s3, -v19
	v_mul_f32_e32 v21, 0x3f29c268, v12
	v_add_f32_e32 v14, v14, v22
	v_fmac_f32_e32 v20, 0xbeb58ec6, v18
	v_add_f32_e32 v19, v19, v23
	v_fma_f32 v22, v17, s5, -v21
	v_mul_f32_e32 v23, 0x3f29c268, v11
	v_fmac_f32_e32 v21, 0xbf3f9e67, v17
	v_add_f32_e32 v20, v20, v24
	v_mov_b32_e32 v24, v23
	v_add_f32_e32 v21, v21, v25
	v_fma_f32 v23, v18, s5, -v23
	v_mul_f32_e32 v25, 0x3eedf032, v12
	v_add_f32_e32 v22, v22, v26
	v_fmac_f32_e32 v24, 0xbf3f9e67, v18
	v_add_f32_e32 v23, v23, v27
	v_fma_f32 v26, v17, s6, -v25
	v_mul_f32_e32 v27, 0x3eedf032, v11
	v_fmac_f32_e32 v25, 0x3f62ad3f, v17
	v_add_f32_e32 v24, v24, v30
	;; [unrolled: 11-line block ×3, first 2 shown]
	v_mov_b32_e32 v36, v32
	v_add_f32_e32 v28, v28, v38
	v_fma_f32 v32, v18, s2, -v32
	v_mul_f32_e32 v38, 0x3e750f2a, v12
	v_add_f32_e32 v31, v31, v39
	v_add_f32_e32 v32, v32, v40
	v_fma_f32 v39, v17, s7, -v38
	v_mul_f32_e32 v40, 0x3e750f2a, v11
	v_mul_f32_e32 v11, 0x3f52af12, v11
	v_add_f32_e32 v51, v51, v55
	v_add_f32_e32 v39, v39, v43
	v_mov_b32_e32 v43, v11
	v_add_f32_e32 v50, v50, v54
	v_add_f32_e32 v47, v47, v51
	v_fmac_f32_e32 v38, 0xbf788fa5, v17
	v_mul_f32_e32 v12, 0x3f52af12, v12
	v_fmac_f32_e32 v43, 0x3f116cb1, v18
	v_add_f32_e32 v46, v46, v50
	v_add_f32_e32 v38, v38, v42
	v_fma_f32 v42, v17, s4, -v12
	v_add_f32_e32 v43, v43, v47
	v_add_f32_e32 v47, v10, v8
	v_sub_f32_e32 v8, v8, v10
	v_fmac_f32_e32 v36, 0x3df6dbef, v18
	v_add_f32_e32 v42, v42, v46
	v_add_f32_e32 v46, v9, v7
	v_sub_f32_e32 v7, v7, v9
	v_mul_f32_e32 v9, 0xbf29c268, v8
	v_add_f32_e32 v49, v49, v53
	v_add_f32_e32 v48, v48, v52
	;; [unrolled: 1-line block ×3, first 2 shown]
	v_mov_b32_e32 v41, v40
	v_fma_f32 v10, v46, s5, -v9
	v_add_f32_e32 v45, v45, v49
	v_add_f32_e32 v44, v44, v48
	v_fmac_f32_e32 v41, 0xbf788fa5, v18
	v_fma_f32 v11, v18, s4, -v11
	v_add_f32_e32 v48, v10, v14
	v_mul_f32_e32 v10, 0xbf29c268, v7
	v_add_f32_e32 v41, v41, v45
	v_add_f32_e32 v45, v11, v15
	v_mov_b32_e32 v11, v10
	v_fmac_f32_e32 v11, 0xbf3f9e67, v47
	v_fma_f32 v40, v18, s7, -v40
	v_fmac_f32_e32 v12, 0x3f116cb1, v17
	v_add_f32_e32 v49, v11, v20
	v_fma_f32 v10, v47, s5, -v10
	v_mul_f32_e32 v11, 0x3f7e222b, v8
	v_add_f32_e32 v40, v40, v44
	v_add_f32_e32 v44, v12, v16
	;; [unrolled: 1-line block ×3, first 2 shown]
	v_fma_f32 v10, v46, s2, -v11
	v_mul_f32_e32 v12, 0x3f7e222b, v7
	v_fmac_f32_e32 v11, 0x3df6dbef, v46
	v_mul_f32_e32 v14, 0xbf52af12, v7
	v_mul_f32_e32 v19, 0x3e750f2a, v8
	v_add_f32_e32 v51, v10, v22
	v_mov_b32_e32 v10, v12
	v_add_f32_e32 v15, v11, v21
	v_fma_f32 v11, v47, s2, -v12
	v_mov_b32_e32 v12, v14
	v_fma_f32 v17, v46, s7, -v19
	v_fmac_f32_e32 v12, 0x3f116cb1, v47
	v_fma_f32 v14, v47, s4, -v14
	v_add_f32_e32 v17, v17, v31
	v_mul_f32_e32 v20, 0x3e750f2a, v7
	v_fmac_f32_e32 v19, 0xbf788fa5, v46
	v_sub_f32_e32 v31, v4, v6
	v_fmac_f32_e32 v9, 0xbf3f9e67, v46
	v_fmac_f32_e32 v10, 0x3df6dbef, v47
	v_add_f32_e32 v16, v11, v23
	v_add_f32_e32 v12, v12, v30
	;; [unrolled: 1-line block ×3, first 2 shown]
	v_mov_b32_e32 v18, v20
	v_add_f32_e32 v23, v19, v28
	v_fma_f32 v19, v47, s7, -v20
	v_add_f32_e32 v27, v5, v3
	v_sub_f32_e32 v30, v3, v5
	v_mul_f32_e32 v5, 0xbe750f2a, v31
	v_add_f32_e32 v9, v9, v13
	v_add_f32_e32 v10, v10, v24
	v_fmac_f32_e32 v18, 0xbf788fa5, v47
	v_add_f32_e32 v24, v19, v32
	v_fma_f32 v3, v27, s7, -v5
	v_fmac_f32_e32 v5, 0xbf788fa5, v27
	v_mul_f32_e32 v32, 0x3eedf032, v31
	v_add_f32_e32 v18, v18, v36
	v_add_f32_e32 v28, v6, v4
	;; [unrolled: 1-line block ×3, first 2 shown]
	v_fma_f32 v9, v27, s6, -v32
	v_mul_f32_e32 v36, 0x3eedf032, v30
	v_fmac_f32_e32 v32, 0x3f62ad3f, v27
	v_mul_f32_e32 v13, 0xbf52af12, v8
	v_mul_f32_e32 v21, 0x3eedf032, v8
	v_add_f32_e32 v15, v32, v15
	v_fma_f32 v32, v28, s6, -v36
	v_fma_f32 v11, v46, s4, -v13
	;; [unrolled: 1-line block ×3, first 2 shown]
	v_fmac_f32_e32 v21, 0x3f62ad3f, v46
	v_add_f32_e32 v16, v32, v16
	v_mul_f32_e32 v32, 0xbf29c268, v31
	v_add_f32_e32 v11, v11, v26
	v_fmac_f32_e32 v13, 0x3f116cb1, v46
	v_add_f32_e32 v21, v21, v38
	v_mov_b32_e32 v38, v36
	v_fma_f32 v36, v27, s5, -v32
	v_add_f32_e32 v13, v13, v25
	v_add_f32_e32 v11, v36, v11
	v_mul_f32_e32 v36, 0xbf29c268, v30
	v_fmac_f32_e32 v32, 0xbf3f9e67, v27
	v_add_f32_e32 v13, v32, v13
	v_fma_f32 v32, v28, s5, -v36
	v_fmac_f32_e32 v38, 0x3f62ad3f, v28
	v_add_f32_e32 v14, v32, v14
	v_mul_f32_e32 v32, 0x3f52af12, v31
	v_add_f32_e32 v10, v38, v10
	v_mov_b32_e32 v38, v36
	v_fma_f32 v36, v27, s4, -v32
	v_add_f32_e32 v17, v36, v17
	v_mul_f32_e32 v36, 0x3f52af12, v30
	v_fmac_f32_e32 v32, 0x3f116cb1, v27
	v_add_f32_e32 v23, v32, v23
	v_fma_f32 v32, v28, s4, -v36
	v_fmac_f32_e32 v38, 0xbf3f9e67, v28
	v_add_f32_e32 v24, v32, v24
	v_mul_f32_e32 v32, 0xbf6f5d39, v31
	v_add_f32_e32 v19, v19, v39
	v_mul_f32_e32 v22, 0x3eedf032, v7
	v_add_f32_e32 v12, v38, v12
	v_mov_b32_e32 v38, v36
	v_fma_f32 v36, v27, s3, -v32
	v_mov_b32_e32 v20, v22
	v_fma_f32 v22, v47, s6, -v22
	v_mul_f32_e32 v8, 0xbf6f5d39, v8
	v_add_f32_e32 v19, v36, v19
	v_mul_f32_e32 v36, 0xbf6f5d39, v30
	v_fmac_f32_e32 v32, 0xbeb58ec6, v27
	v_add_f32_e32 v22, v22, v40
	v_fma_f32 v25, v46, s3, -v8
	v_mul_f32_e32 v7, 0xbf6f5d39, v7
	v_fmac_f32_e32 v8, 0xbeb58ec6, v46
	v_add_f32_e32 v21, v32, v21
	v_fma_f32 v32, v28, s3, -v36
	v_mul_f32_e32 v31, 0x3f7e222b, v31
	v_add_f32_e32 v25, v25, v42
	v_mov_b32_e32 v26, v7
	v_add_f32_e32 v8, v8, v44
	v_fma_f32 v7, v47, s3, -v7
	v_mul_f32_e32 v6, 0xbe750f2a, v30
	v_fmac_f32_e32 v38, 0x3f116cb1, v28
	v_add_f32_e32 v22, v32, v22
	v_fma_f32 v32, v27, s2, -v31
	v_mul_f32_e32 v30, 0x3f7e222b, v30
	v_fmac_f32_e32 v31, 0x3df6dbef, v27
	v_fmac_f32_e32 v20, 0x3f62ad3f, v47
	;; [unrolled: 1-line block ×3, first 2 shown]
	v_add_f32_e32 v7, v7, v45
	v_mov_b32_e32 v4, v6
	v_add_f32_e32 v18, v38, v18
	v_mov_b32_e32 v38, v36
	;; [unrolled: 2-line block ×3, first 2 shown]
	v_add_f32_e32 v27, v31, v8
	v_fma_f32 v8, v28, s2, -v30
	s_movk_i32 s2, 0x3a8
	v_add_f32_e32 v20, v20, v41
	v_add_f32_e32 v26, v26, v43
	v_fmac_f32_e32 v4, 0xbf788fa5, v28
	v_fma_f32 v6, v28, s7, -v6
	v_fmac_f32_e32 v38, 0xbeb58ec6, v28
	v_fmac_f32_e32 v32, 0x3df6dbef, v28
	v_add_f32_e32 v28, v8, v7
	v_mad_u32_u24 v7, v37, s2, 0
	s_movk_i32 s6, 0x75
	v_add_f32_e32 v3, v3, v48
	v_add_f32_e32 v4, v4, v49
	;; [unrolled: 1-line block ×6, first 2 shown]
	v_lshl_add_u32 v8, v29, 3, v7
	v_cmp_gt_u32_e64 s[2:3], s6, v0
	ds_write2_b64 v8, v[1:2], v[3:4] offset1:9
	ds_write2_b64 v8, v[9:10], v[11:12] offset0:18 offset1:27
	ds_write2_b64 v8, v[17:18], v[19:20] offset0:36 offset1:45
	;; [unrolled: 1-line block ×5, first 2 shown]
	ds_write_b64 v8, v[5:6] offset:864
	s_waitcnt lgkmcnt(0)
	s_barrier
	s_waitcnt lgkmcnt(0)
                                        ; implicit-def: $vgpr30
	s_and_saveexec_b64 s[4:5], s[2:3]
	s_cbranch_execz .LBB0_17
; %bb.16:
	v_mul_i32_i24_e32 v1, 0xfffffca0, v37
	v_lshlrev_b32_e32 v2, 3, v29
	v_add3_u32 v29, v7, v1, v2
	v_add_u32_e32 v5, 0x400, v29
	ds_read2_b64 v[9:12], v5 offset0:106 offset1:223
	v_add_u32_e32 v5, 0xc00, v29
	ds_read2_b64 v[17:20], v5 offset0:84 offset1:201
	;; [unrolled: 2-line block ×4, first 2 shown]
	v_add_u32_e32 v5, 0x2400, v29
	ds_read2_b64 v[1:4], v29 offset1:117
	ds_read2_b64 v[13:16], v5 offset0:18 offset1:135
	v_add_u32_e32 v5, 0x2800, v29
	v_add_u32_e32 v29, 0x3000, v29
	ds_read2_b64 v[5:8], v5 offset0:124 offset1:241
	ds_read2_b64 v[29:32], v29 offset0:102 offset1:219
.LBB0_17:
	s_or_b64 exec, exec, s[4:5]
	s_mov_b32 s2, 0x13b13b14
	v_mul_hi_u32 v36, v37, s2
	s_add_i32 s2, 0, 0x3a80
	v_cmp_gt_u32_e64 s[4:5], s6, v0
	v_mul_u32_u24_e32 v36, 13, v36
	v_sub_u32_e32 v36, v37, v36
	v_mul_u32_u24_e32 v37, 15, v36
	v_lshlrev_b32_e32 v53, 3, v37
	global_load_dwordx4 v[37:40], v53, s[20:21]
	global_load_dwordx4 v[41:44], v53, s[20:21] offset:16
	global_load_dwordx4 v[45:48], v53, s[20:21] offset:32
	;; [unrolled: 1-line block ×3, first 2 shown]
	s_waitcnt vmcnt(3) lgkmcnt(3)
	v_mul_f32_e32 v54, v4, v38
	v_mul_f32_e32 v38, v3, v38
	;; [unrolled: 1-line block ×4, first 2 shown]
	v_fma_f32 v54, v3, v37, -v54
	v_fmac_f32_e32 v38, v4, v37
	v_fma_f32 v37, v9, v39, -v55
	v_fmac_f32_e32 v40, v10, v39
	s_waitcnt vmcnt(2)
	v_mul_f32_e32 v3, v12, v42
	v_mul_f32_e32 v39, v11, v42
	;; [unrolled: 1-line block ×4, first 2 shown]
	v_fma_f32 v44, v11, v41, -v3
	v_fmac_f32_e32 v39, v12, v41
	s_waitcnt vmcnt(1)
	v_mul_f32_e32 v3, v20, v46
	v_mul_f32_e32 v41, v19, v46
	v_fma_f32 v46, v17, v43, -v4
	v_fmac_f32_e32 v42, v18, v43
	global_load_dwordx4 v[9:12], v53, s[20:21] offset:64
	v_fma_f32 v43, v19, v45, -v3
	v_fmac_f32_e32 v41, v20, v45
	global_load_dwordx4 v[17:20], v53, s[20:21] offset:80
	v_mul_f32_e32 v3, v26, v48
	v_mul_f32_e32 v45, v25, v48
	v_fma_f32 v48, v25, v47, -v3
	v_fmac_f32_e32 v45, v26, v47
	s_waitcnt vmcnt(2)
	v_mul_f32_e32 v3, v28, v50
	v_mul_f32_e32 v47, v27, v50
	v_fma_f32 v50, v27, v49, -v3
	v_fmac_f32_e32 v47, v28, v49
	global_load_dwordx4 v[25:28], v53, s[20:21] offset:96
	v_mul_f32_e32 v3, v22, v52
	v_mul_f32_e32 v49, v21, v52
	v_fma_f32 v21, v21, v51, -v3
	global_load_dwordx2 v[3:4], v53, s[20:21] offset:112
	v_fmac_f32_e32 v49, v22, v51
	s_waitcnt vmcnt(3)
	v_mul_f32_e32 v22, v24, v10
	v_mul_f32_e32 v10, v23, v10
	s_waitcnt lgkmcnt(2)
	v_mul_f32_e32 v51, v14, v12
	v_fma_f32 v22, v23, v9, -v22
	v_fmac_f32_e32 v10, v24, v9
	v_mul_f32_e32 v9, v13, v12
	s_waitcnt vmcnt(2) lgkmcnt(1)
	v_mul_f32_e32 v23, v6, v20
	v_mul_f32_e32 v12, v16, v18
	v_mul_f32_e32 v18, v15, v18
	v_fma_f32 v13, v13, v11, -v51
	v_fmac_f32_e32 v9, v14, v11
	v_mul_f32_e32 v11, v5, v20
	s_waitcnt vmcnt(1)
	v_mul_f32_e32 v14, v8, v26
	s_waitcnt lgkmcnt(0)
	v_mul_f32_e32 v24, v30, v28
	v_fma_f32 v5, v5, v19, -v23
	v_mul_f32_e32 v20, v7, v26
	v_fma_f32 v12, v15, v17, -v12
	v_fmac_f32_e32 v18, v16, v17
	v_mul_f32_e32 v15, v29, v28
	s_waitcnt vmcnt(0)
	v_mul_f32_e32 v16, v32, v4
	v_mul_f32_e32 v4, v31, v4
	v_fmac_f32_e32 v11, v6, v19
	v_fma_f32 v6, v7, v25, -v14
	v_fma_f32 v7, v29, v27, -v24
	v_sub_f32_e32 v14, v2, v49
	v_sub_f32_e32 v5, v46, v5
	v_fmac_f32_e32 v20, v8, v25
	v_fmac_f32_e32 v15, v30, v27
	v_fma_f32 v8, v31, v3, -v16
	v_fmac_f32_e32 v4, v32, v3
	v_sub_f32_e32 v3, v1, v21
	v_sub_f32_e32 v11, v42, v11
	;; [unrolled: 1-line block ×4, first 2 shown]
	v_fma_f32 v17, v46, 2.0, -v5
	v_add_f32_e32 v5, v14, v5
	v_sub_f32_e32 v13, v37, v13
	v_sub_f32_e32 v15, v45, v15
	;; [unrolled: 1-line block ×3, first 2 shown]
	v_fma_f32 v2, v2, 2.0, -v14
	v_fma_f32 v19, v42, 2.0, -v11
	;; [unrolled: 1-line block ×3, first 2 shown]
	v_sub_f32_e32 v11, v3, v11
	v_fma_f32 v14, v14, 2.0, -v5
	v_add_f32_e32 v7, v9, v7
	v_sub_f32_e32 v16, v54, v22
	v_fma_f32 v1, v1, 2.0, -v3
	v_fma_f32 v21, v37, 2.0, -v13
	v_fma_f32 v22, v40, 2.0, -v9
	v_fma_f32 v24, v45, 2.0, -v15
	v_fma_f32 v26, v38, 2.0, -v10
	v_fma_f32 v3, v3, 2.0, -v11
	v_sub_f32_e32 v15, v13, v15
	v_fma_f32 v9, v9, 2.0, -v7
	v_mov_b32_e32 v38, v14
	v_sub_f32_e32 v19, v2, v19
	v_sub_f32_e32 v23, v21, v23
	v_fma_f32 v13, v13, 2.0, -v15
	v_mov_b32_e32 v37, v3
	v_fmac_f32_e32 v38, 0xbf3504f3, v9
	v_sub_f32_e32 v6, v43, v6
	v_sub_f32_e32 v20, v41, v20
	;; [unrolled: 1-line block ×6, first 2 shown]
	v_fma_f32 v21, v21, 2.0, -v23
	v_fmac_f32_e32 v37, 0xbf3504f3, v13
	v_fmac_f32_e32 v38, 0x3f3504f3, v13
	v_add_f32_e32 v23, v19, v23
	v_fma_f32 v25, v54, 2.0, -v16
	v_fma_f32 v27, v43, 2.0, -v6
	;; [unrolled: 1-line block ×8, first 2 shown]
	v_fmac_f32_e32 v37, 0xbf3504f3, v9
	v_fma_f32 v9, v14, 2.0, -v38
	v_fma_f32 v14, v19, 2.0, -v23
	v_mov_b32_e32 v19, v11
	v_sub_f32_e32 v27, v25, v27
	v_sub_f32_e32 v28, v26, v28
	;; [unrolled: 1-line block ×4, first 2 shown]
	v_fmac_f32_e32 v19, 0x3f3504f3, v15
	v_mov_b32_e32 v39, v5
	v_sub_f32_e32 v17, v1, v17
	v_sub_f32_e32 v24, v22, v24
	v_fma_f32 v25, v25, 2.0, -v27
	v_fma_f32 v26, v26, 2.0, -v28
	v_sub_f32_e32 v20, v16, v20
	v_fma_f32 v29, v29, 2.0, -v31
	v_fma_f32 v30, v30, 2.0, -v32
	v_fmac_f32_e32 v39, 0x3f3504f3, v7
	v_fmac_f32_e32 v19, 0xbf3504f3, v7
	v_fma_f32 v22, v22, 2.0, -v24
	v_add_f32_e32 v6, v10, v6
	v_fma_f32 v16, v16, 2.0, -v20
	v_sub_f32_e32 v4, v12, v4
	v_sub_f32_e32 v24, v17, v24
	v_fmac_f32_e32 v39, 0x3f3504f3, v15
	v_fma_f32 v7, v11, 2.0, -v19
	v_sub_f32_e32 v11, v25, v29
	v_sub_f32_e32 v15, v26, v30
	v_fma_f32 v1, v1, 2.0, -v17
	v_fma_f32 v10, v10, 2.0, -v6
	v_add_f32_e32 v8, v18, v8
	v_fma_f32 v12, v12, 2.0, -v4
	v_fma_f32 v13, v17, 2.0, -v24
	;; [unrolled: 1-line block ×4, first 2 shown]
	v_mov_b32_e32 v26, v16
	v_fma_f32 v18, v18, 2.0, -v8
	v_fmac_f32_e32 v26, 0xbf3504f3, v12
	v_mov_b32_e32 v29, v10
	v_fmac_f32_e32 v29, 0xbf3504f3, v18
	v_fmac_f32_e32 v26, 0xbf3504f3, v18
	v_sub_f32_e32 v18, v27, v32
	v_add_f32_e32 v30, v28, v31
	v_sub_f32_e32 v21, v1, v21
	v_fmac_f32_e32 v29, 0x3f3504f3, v12
	v_fma_f32 v12, v16, 2.0, -v26
	v_fma_f32 v16, v27, 2.0, -v18
	;; [unrolled: 1-line block ×3, first 2 shown]
	v_mov_b32_e32 v28, v20
	v_fma_f32 v1, v1, 2.0, -v21
	v_fmac_f32_e32 v28, 0x3f3504f3, v4
	v_mov_b32_e32 v31, v6
	v_fmac_f32_e32 v31, 0x3f3504f3, v8
	v_fmac_f32_e32 v28, 0xbf3504f3, v8
	v_sub_f32_e32 v32, v1, v17
	v_fma_f32 v3, v3, 2.0, -v37
	v_fmac_f32_e32 v31, 0x3f3504f3, v4
	v_fma_f32 v4, v20, 2.0, -v28
	v_fma_f32 v20, v1, 2.0, -v32
	v_mul_lo_u32 v1, v36, v35
	v_mov_b32_e32 v43, v3
	v_mov_b32_e32 v46, v14
	v_sub_f32_e32 v22, v2, v22
	v_fma_f32 v5, v5, 2.0, -v39
	v_fma_f32 v10, v10, 2.0, -v29
	v_fmac_f32_e32 v43, 0xbf6c835e, v12
	v_mov_b32_e32 v45, v13
	v_fmac_f32_e32 v46, 0xbf3504f3, v27
	v_fma_f32 v2, v2, 2.0, -v22
	v_fma_f32 v6, v6, 2.0, -v31
	v_mov_b32_e32 v44, v9
	v_fmac_f32_e32 v43, 0xbec3ef15, v10
	v_fmac_f32_e32 v45, 0xbf3504f3, v16
	;; [unrolled: 1-line block ×3, first 2 shown]
	v_mov_b32_e32 v49, v5
	v_sub_f32_e32 v16, v21, v15
	v_mul_lo_u32 v15, v35, 13
	v_sub_f32_e32 v40, v2, v25
	v_fmac_f32_e32 v44, 0xbf6c835e, v10
	v_fma_f32 v41, v3, 2.0, -v43
	v_mov_b32_e32 v48, v7
	v_fmac_f32_e32 v49, 0xbec3ef15, v6
	v_lshrrev_b32_e32 v3, 2, v1
	v_fma_f32 v25, v2, 2.0, -v40
	v_fmac_f32_e32 v44, 0x3ec3ef15, v12
	v_fmac_f32_e32 v48, 0xbec3ef15, v4
	;; [unrolled: 1-line block ×3, first 2 shown]
	v_mov_b32_e32 v12, v23
	v_and_b32_e32 v2, 31, v1
	v_and_b32_e32 v3, 0xf8, v3
	v_lshrrev_b32_e32 v4, 7, v1
	v_add_f32_e32 v17, v22, v11
	v_mov_b32_e32 v11, v24
	v_fmac_f32_e32 v12, 0x3f3504f3, v30
	v_lshl_add_u32 v2, v2, 3, 0
	v_add_u32_e32 v3, s2, v3
	v_and_b32_e32 v4, 0xf8, v4
	v_fma_f32 v51, v5, 2.0, -v49
	v_fmac_f32_e32 v11, 0x3f3504f3, v18
	v_fmac_f32_e32 v12, 0x3f3504f3, v18
	v_add_u32_e32 v5, s2, v4
	v_add_u32_e32 v18, v1, v15
	ds_read_b64 v[1:2], v2 offset:14976
	ds_read_b64 v[3:4], v3 offset:256
	v_fma_f32 v42, v9, 2.0, -v44
	v_fmac_f32_e32 v48, 0xbf6c835e, v6
	v_mov_b32_e32 v9, v19
	v_and_b32_e32 v6, 31, v18
	v_fma_f32 v50, v7, 2.0, -v48
	v_fmac_f32_e32 v9, 0x3f6c835e, v28
	v_lshl_add_u32 v7, v6, 3, 0
	v_mov_b32_e32 v10, v39
	v_fmac_f32_e32 v9, 0xbec3ef15, v31
	ds_read_b64 v[5:6], v5 offset:512
	ds_read_b64 v[7:8], v7 offset:14976
	v_fmac_f32_e32 v10, 0x3f6c835e, v31
	v_fma_f32 v31, v19, 2.0, -v9
	s_waitcnt lgkmcnt(2)
	v_mul_f32_e32 v19, v2, v4
	v_fma_f32 v19, v1, v3, -v19
	v_mul_f32_e32 v1, v1, v4
	v_fmac_f32_e32 v1, v2, v3
	s_waitcnt lgkmcnt(1)
	v_mul_f32_e32 v2, v1, v6
	v_fma_f32 v3, v5, v19, -v2
	v_mul_f32_e32 v2, v19, v6
	v_fmac_f32_e32 v2, v5, v1
	v_mul_f32_e32 v1, v2, v25
	v_mul_f32_e32 v2, v2, v20
	v_lshrrev_b32_e32 v4, 7, v18
	v_fma_f32 v53, v22, 2.0, -v17
	v_fma_f32 v1, v3, v20, -v1
	v_fmac_f32_e32 v2, v3, v25
	v_lshrrev_b32_e32 v3, 2, v18
	v_and_b32_e32 v4, 0xf8, v4
	v_add_u32_e32 v22, v18, v15
	v_and_b32_e32 v3, 0xf8, v3
	v_add_u32_e32 v5, s2, v4
	;; [unrolled: 2-line block ×3, first 2 shown]
	v_lshl_add_u32 v18, v4, 3, 0
	v_lshrrev_b32_e32 v4, 2, v22
	v_and_b32_e32 v6, 0xf8, v4
	ds_read_b64 v[3:4], v3 offset:256
	v_add_u32_e32 v20, s2, v6
	v_fma_f32 v52, v21, 2.0, -v16
	ds_read_b64 v[5:6], v5 offset:512
	ds_read_b64 v[18:19], v18 offset:14976
	;; [unrolled: 1-line block ×3, first 2 shown]
	v_fma_f32 v54, v23, 2.0, -v12
	s_waitcnt lgkmcnt(3)
	v_mul_f32_e32 v23, v8, v4
	v_mul_f32_e32 v4, v7, v4
	v_fma_f32 v23, v7, v3, -v23
	v_fmac_f32_e32 v4, v8, v3
	s_waitcnt lgkmcnt(2)
	v_mul_f32_e32 v3, v4, v6
	v_mul_f32_e32 v6, v23, v6
	v_fma_f32 v7, v5, v23, -v3
	v_fmac_f32_e32 v6, v5, v4
	s_waitcnt lgkmcnt(0)
	v_mul_f32_e32 v5, v19, v21
	v_fma_f32 v23, v18, v20, -v5
	v_lshrrev_b32_e32 v5, 7, v22
	v_add_u32_e32 v22, v22, v15
	v_mul_f32_e32 v3, v42, v6
	v_mul_f32_e32 v4, v41, v6
	v_and_b32_e32 v6, 31, v22
	v_fma_f32 v3, v41, v7, -v3
	v_fmac_f32_e32 v4, v42, v7
	v_lshl_add_u32 v7, v6, 3, 0
	v_lshrrev_b32_e32 v6, 2, v22
	v_fmac_f32_e32 v11, 0xbf3504f3, v30
	v_and_b32_e32 v5, 0xf8, v5
	v_and_b32_e32 v6, 0xf8, v6
	v_fma_f32 v30, v24, 2.0, -v11
	v_mul_f32_e32 v24, v18, v21
	v_add_u32_e32 v5, s2, v5
	v_add_u32_e32 v18, s2, v6
	v_lshrrev_b32_e32 v6, 7, v22
	v_and_b32_e32 v8, 0xf8, v6
	ds_read_b64 v[5:6], v5 offset:512
	v_fmac_f32_e32 v24, v19, v20
	v_add_u32_e32 v20, s2, v8
	ds_read_b64 v[7:8], v7 offset:14976
	ds_read_b64 v[18:19], v18 offset:256
	;; [unrolled: 1-line block ×3, first 2 shown]
	v_fmac_f32_e32 v45, 0xbf3504f3, v27
	s_waitcnt lgkmcnt(3)
	v_mul_f32_e32 v25, v24, v6
	v_fma_f32 v25, v5, v23, -v25
	v_mul_f32_e32 v6, v23, v6
	s_waitcnt lgkmcnt(1)
	v_mul_f32_e32 v23, v8, v19
	v_fma_f32 v23, v7, v18, -v23
	v_mul_f32_e32 v7, v7, v19
	v_fmac_f32_e32 v7, v8, v18
	s_waitcnt lgkmcnt(0)
	v_mul_f32_e32 v8, v7, v21
	v_fma_f32 v18, v20, v23, -v8
	v_mul_f32_e32 v8, v23, v21
	v_fmac_f32_e32 v8, v20, v7
	v_mul_f32_e32 v7, v51, v8
	v_mul_f32_e32 v8, v50, v8
	v_fma_f32 v7, v50, v18, -v7
	v_fmac_f32_e32 v8, v51, v18
	v_add_u32_e32 v18, v22, v15
	v_lshrrev_b32_e32 v20, 2, v18
	v_fma_f32 v47, v14, 2.0, -v46
	v_mov_b32_e32 v14, v38
	v_and_b32_e32 v19, 31, v18
	v_and_b32_e32 v20, 0xf8, v20
	v_lshrrev_b32_e32 v21, 7, v18
	v_fma_f32 v27, v13, 2.0, -v45
	v_mov_b32_e32 v13, v37
	v_fmac_f32_e32 v14, 0x3ec3ef15, v29
	v_lshl_add_u32 v19, v19, 3, 0
	v_add_u32_e32 v20, s2, v20
	v_and_b32_e32 v21, 0xf8, v21
	v_fmac_f32_e32 v13, 0x3ec3ef15, v26
	v_fmac_f32_e32 v14, 0x3f6c835e, v26
	v_add_u32_e32 v22, s2, v21
	v_add_u32_e32 v26, v18, v15
	ds_read_b64 v[18:19], v19 offset:14976
	ds_read_b64 v[20:21], v20 offset:256
	v_fmac_f32_e32 v6, v5, v24
	v_and_b32_e32 v23, 31, v26
	v_mul_f32_e32 v5, v47, v6
	v_mul_f32_e32 v6, v27, v6
	v_lshl_add_u32 v24, v23, 3, 0
	v_fma_f32 v5, v27, v25, -v5
	v_fmac_f32_e32 v6, v47, v25
	ds_read_b64 v[22:23], v22 offset:512
	ds_read_b64 v[24:25], v24 offset:14976
	s_waitcnt lgkmcnt(2)
	v_mul_f32_e32 v27, v19, v21
	v_fma_f32 v27, v18, v20, -v27
	v_mul_f32_e32 v18, v18, v21
	v_fmac_f32_e32 v18, v19, v20
	s_waitcnt lgkmcnt(1)
	v_mul_f32_e32 v19, v18, v23
	v_fma_f32 v20, v22, v27, -v19
	v_mul_f32_e32 v19, v27, v23
	v_fmac_f32_e32 v19, v22, v18
	v_mul_f32_e32 v18, v53, v19
	v_mul_f32_e32 v19, v52, v19
	v_lshrrev_b32_e32 v21, 7, v26
	v_fma_f32 v18, v52, v20, -v18
	v_fmac_f32_e32 v19, v53, v20
	v_lshrrev_b32_e32 v20, 2, v26
	v_and_b32_e32 v21, 0xf8, v21
	v_add_u32_e32 v35, v26, v15
	v_and_b32_e32 v20, 0xf8, v20
	v_add_u32_e32 v22, s2, v21
	;; [unrolled: 2-line block ×3, first 2 shown]
	v_lshl_add_u32 v26, v21, 3, 0
	v_lshrrev_b32_e32 v21, 2, v35
	v_and_b32_e32 v23, 0xf8, v21
	ds_read_b64 v[20:21], v20 offset:256
	v_fmac_f32_e32 v10, 0x3ec3ef15, v28
	v_add_u32_e32 v28, s2, v23
	v_fmac_f32_e32 v13, 0xbf6c835e, v29
	ds_read_b64 v[22:23], v22 offset:512
	ds_read_b64 v[26:27], v26 offset:14976
	;; [unrolled: 1-line block ×3, first 2 shown]
	s_waitcnt lgkmcnt(3)
	v_mul_f32_e32 v41, v25, v21
	v_mul_f32_e32 v21, v24, v21
	v_fma_f32 v41, v24, v20, -v41
	v_fmac_f32_e32 v21, v25, v20
	s_waitcnt lgkmcnt(2)
	v_mul_f32_e32 v20, v21, v23
	v_mul_f32_e32 v23, v41, v23
	v_fma_f32 v38, v38, 2.0, -v14
	v_fmac_f32_e32 v23, v22, v21
	v_fma_f32 v37, v37, 2.0, -v13
	v_fma_f32 v24, v22, v41, -v20
	v_mul_f32_e32 v20, v38, v23
	s_waitcnt lgkmcnt(0)
	v_mul_f32_e32 v22, v27, v29
	v_fma_f32 v20, v37, v24, -v20
	v_mul_f32_e32 v21, v37, v23
	v_fma_f32 v37, v26, v28, -v22
	v_lshrrev_b32_e32 v22, 7, v35
	v_add_u32_e32 v35, v35, v15
	v_and_b32_e32 v23, 31, v35
	v_fmac_f32_e32 v21, v38, v24
	v_lshl_add_u32 v24, v23, 3, 0
	v_lshrrev_b32_e32 v23, 2, v35
	v_and_b32_e32 v22, 0xf8, v22
	v_and_b32_e32 v23, 0xf8, v23
	v_mul_f32_e32 v38, v26, v29
	v_add_u32_e32 v22, s2, v22
	v_add_u32_e32 v26, s2, v23
	v_lshrrev_b32_e32 v23, 7, v35
	v_and_b32_e32 v25, 0xf8, v23
	ds_read_b64 v[22:23], v22 offset:512
	v_fmac_f32_e32 v38, v27, v28
	v_add_u32_e32 v28, s2, v25
	ds_read_b64 v[24:25], v24 offset:14976
	ds_read_b64 v[26:27], v26 offset:256
	;; [unrolled: 1-line block ×3, first 2 shown]
	v_fma_f32 v39, v39, 2.0, -v10
	s_waitcnt lgkmcnt(3)
	v_mul_f32_e32 v41, v38, v23
	v_mul_f32_e32 v23, v37, v23
	v_fmac_f32_e32 v23, v22, v38
	v_fma_f32 v41, v22, v37, -v41
	v_mul_f32_e32 v22, v54, v23
	v_fma_f32 v22, v30, v41, -v22
	v_mul_f32_e32 v23, v30, v23
	s_waitcnt lgkmcnt(1)
	v_mul_f32_e32 v30, v25, v27
	v_fma_f32 v30, v24, v26, -v30
	v_mul_f32_e32 v24, v24, v27
	v_fmac_f32_e32 v24, v25, v26
	s_waitcnt lgkmcnt(0)
	v_mul_f32_e32 v25, v24, v29
	v_fma_f32 v26, v28, v30, -v25
	v_mul_f32_e32 v25, v30, v29
	v_fmac_f32_e32 v25, v28, v24
	v_mul_f32_e32 v24, v39, v25
	v_mul_f32_e32 v25, v31, v25
	v_fma_f32 v24, v31, v26, -v24
	v_fmac_f32_e32 v25, v39, v26
	v_add_u32_e32 v26, v35, v15
	v_lshrrev_b32_e32 v28, 2, v26
	v_and_b32_e32 v27, 31, v26
	v_and_b32_e32 v28, 0xf8, v28
	v_lshrrev_b32_e32 v29, 7, v26
	v_lshl_add_u32 v27, v27, 3, 0
	v_add_u32_e32 v28, s2, v28
	v_and_b32_e32 v29, 0xf8, v29
	v_add_u32_e32 v30, s2, v29
	v_add_u32_e32 v35, v26, v15
	ds_read_b64 v[26:27], v27 offset:14976
	ds_read_b64 v[28:29], v28 offset:256
	v_and_b32_e32 v31, 31, v35
	v_lshl_add_u32 v37, v31, 3, 0
	ds_read_b64 v[30:31], v30 offset:512
	ds_read_b64 v[37:38], v37 offset:14976
	v_fmac_f32_e32 v23, v54, v41
	s_waitcnt lgkmcnt(2)
	v_mul_f32_e32 v39, v27, v29
	v_fma_f32 v39, v26, v28, -v39
	v_mul_f32_e32 v26, v26, v29
	v_fmac_f32_e32 v26, v27, v28
	s_waitcnt lgkmcnt(1)
	v_mul_f32_e32 v27, v26, v31
	v_fma_f32 v28, v30, v39, -v27
	v_mul_f32_e32 v27, v39, v31
	v_fmac_f32_e32 v27, v30, v26
	v_mul_f32_e32 v26, v40, v27
	v_mul_f32_e32 v27, v32, v27
	v_lshrrev_b32_e32 v29, 7, v35
	v_fma_f32 v26, v32, v28, -v26
	v_fmac_f32_e32 v27, v40, v28
	v_lshrrev_b32_e32 v28, 2, v35
	v_and_b32_e32 v29, 0xf8, v29
	v_add_u32_e32 v32, v35, v15
	v_and_b32_e32 v28, 0xf8, v28
	v_add_u32_e32 v30, s2, v29
	;; [unrolled: 2-line block ×3, first 2 shown]
	v_lshl_add_u32 v35, v29, 3, 0
	v_lshrrev_b32_e32 v29, 2, v32
	v_and_b32_e32 v31, 0xf8, v29
	ds_read_b64 v[28:29], v28 offset:256
	v_add_u32_e32 v41, s2, v31
	ds_read_b64 v[30:31], v30 offset:512
	ds_read_b64 v[39:40], v35 offset:14976
	ds_read_b64 v[41:42], v41 offset:256
	s_waitcnt lgkmcnt(3)
	v_mul_f32_e32 v35, v38, v29
	v_mul_f32_e32 v29, v37, v29
	v_fma_f32 v35, v37, v28, -v35
	v_fmac_f32_e32 v29, v38, v28
	s_waitcnt lgkmcnt(2)
	v_mul_f32_e32 v28, v29, v31
	v_mul_f32_e32 v31, v35, v31
	v_fma_f32 v37, v30, v35, -v28
	v_fmac_f32_e32 v31, v30, v29
	s_waitcnt lgkmcnt(0)
	v_mul_f32_e32 v30, v40, v42
	v_fma_f32 v35, v39, v41, -v30
	v_lshrrev_b32_e32 v30, 7, v32
	v_add_u32_e32 v32, v32, v15
	v_mul_f32_e32 v28, v44, v31
	v_mul_f32_e32 v29, v43, v31
	v_and_b32_e32 v31, 31, v32
	v_fma_f32 v28, v43, v37, -v28
	v_fmac_f32_e32 v29, v44, v37
	v_lshl_add_u32 v37, v31, 3, 0
	v_lshrrev_b32_e32 v31, 2, v32
	v_and_b32_e32 v30, 0xf8, v30
	v_and_b32_e32 v31, 0xf8, v31
	v_mul_f32_e32 v43, v39, v42
	v_add_u32_e32 v30, s2, v30
	v_add_u32_e32 v39, s2, v31
	v_lshrrev_b32_e32 v31, 7, v32
	v_and_b32_e32 v38, 0xf8, v31
	ds_read_b64 v[30:31], v30 offset:512
	v_fmac_f32_e32 v43, v40, v41
	v_add_u32_e32 v41, s2, v38
	ds_read_b64 v[37:38], v37 offset:14976
	ds_read_b64 v[39:40], v39 offset:256
	;; [unrolled: 1-line block ×3, first 2 shown]
	v_add_u32_e32 v32, v32, v15
	s_waitcnt lgkmcnt(3)
	v_mul_f32_e32 v44, v43, v31
	v_fma_f32 v44, v30, v35, -v44
	v_mul_f32_e32 v31, v35, v31
	s_waitcnt lgkmcnt(1)
	v_mul_f32_e32 v35, v38, v40
	v_fma_f32 v35, v37, v39, -v35
	v_mul_f32_e32 v37, v37, v40
	v_fmac_f32_e32 v37, v38, v39
	s_waitcnt lgkmcnt(0)
	v_mul_f32_e32 v38, v37, v42
	v_fma_f32 v39, v41, v35, -v38
	v_mul_f32_e32 v35, v35, v42
	v_fmac_f32_e32 v35, v41, v37
	v_mul_f32_e32 v37, v49, v35
	v_mul_f32_e32 v38, v48, v35
	v_fma_f32 v37, v48, v39, -v37
	v_fmac_f32_e32 v38, v49, v39
	v_lshrrev_b32_e32 v39, 2, v32
	v_and_b32_e32 v39, 0xf8, v39
	v_and_b32_e32 v35, 31, v32
	v_add_u32_e32 v41, s2, v39
	v_lshrrev_b32_e32 v39, 7, v32
	v_lshl_add_u32 v35, v35, 3, 0
	v_and_b32_e32 v39, 0xf8, v39
	v_fmac_f32_e32 v31, v30, v43
	v_add_u32_e32 v43, s2, v39
	ds_read_b64 v[39:40], v35 offset:14976
	ds_read_b64 v[41:42], v41 offset:256
	v_add_u32_e32 v32, v32, v15
	v_mul_f32_e32 v30, v46, v31
	v_mul_f32_e32 v31, v45, v31
	v_and_b32_e32 v35, 31, v32
	v_fma_f32 v30, v45, v44, -v30
	v_fmac_f32_e32 v31, v46, v44
	v_lshl_add_u32 v35, v35, 3, 0
	ds_read_b64 v[43:44], v43 offset:512
	ds_read_b64 v[45:46], v35 offset:14976
	s_waitcnt lgkmcnt(2)
	v_mul_f32_e32 v35, v40, v42
	v_fma_f32 v35, v39, v41, -v35
	v_mul_f32_e32 v39, v39, v42
	v_fmac_f32_e32 v39, v40, v41
	s_waitcnt lgkmcnt(1)
	v_mul_f32_e32 v40, v39, v44
	v_fma_f32 v41, v43, v35, -v40
	v_mul_f32_e32 v35, v35, v44
	v_fmac_f32_e32 v35, v43, v39
	v_mul_f32_e32 v40, v16, v35
	v_mul_f32_e32 v39, v17, v35
	v_fmac_f32_e32 v40, v17, v41
	v_lshrrev_b32_e32 v17, 7, v32
	v_fma_f32 v39, v16, v41, -v39
	v_lshrrev_b32_e32 v16, 2, v32
	v_and_b32_e32 v17, 0xf8, v17
	v_add_u32_e32 v32, v32, v15
	v_and_b32_e32 v16, 0xf8, v16
	v_add_u32_e32 v35, s2, v17
	v_and_b32_e32 v17, 31, v32
	v_add_u32_e32 v16, s2, v16
	v_lshl_add_u32 v43, v17, 3, 0
	v_lshrrev_b32_e32 v17, 2, v32
	v_and_b32_e32 v41, 0xf8, v17
	ds_read_b64 v[16:17], v16 offset:256
	v_add_u32_e32 v47, s2, v41
	ds_read_b64 v[41:42], v35 offset:512
	ds_read_b64 v[43:44], v43 offset:14976
	;; [unrolled: 1-line block ×3, first 2 shown]
	s_waitcnt lgkmcnt(3)
	v_mul_f32_e32 v35, v46, v17
	v_mul_f32_e32 v17, v45, v17
	v_fmac_f32_e32 v17, v46, v16
	v_fma_f32 v35, v45, v16, -v35
	s_waitcnt lgkmcnt(2)
	v_mul_f32_e32 v16, v17, v42
	v_fma_f32 v45, v41, v35, -v16
	v_mul_f32_e32 v35, v35, v42
	v_fmac_f32_e32 v35, v41, v17
	v_mul_f32_e32 v16, v14, v35
	v_fma_f32 v16, v13, v45, -v16
	v_mul_f32_e32 v17, v13, v35
	s_waitcnt lgkmcnt(0)
	v_mul_f32_e32 v13, v44, v48
	v_fma_f32 v35, v43, v47, -v13
	v_lshrrev_b32_e32 v13, 7, v32
	v_fmac_f32_e32 v17, v14, v45
	v_and_b32_e32 v13, 0xf8, v13
	v_add_u32_e32 v14, v32, v15
	v_add_u32_e32 v13, s2, v13
	v_and_b32_e32 v15, 31, v14
	v_lshrrev_b32_e32 v32, 2, v14
	v_lshrrev_b32_e32 v14, 7, v14
	v_and_b32_e32 v41, 0xf8, v14
	ds_read_b64 v[13:14], v13 offset:512
	v_mul_f32_e32 v48, v43, v48
	v_lshl_add_u32 v15, v15, 3, 0
	v_and_b32_e32 v32, 0xf8, v32
	v_add_u32_e32 v45, s2, v41
	v_fmac_f32_e32 v48, v44, v47
	v_add_u32_e32 v32, s2, v32
	ds_read_b64 v[41:42], v15 offset:14976
	ds_read_b64 v[43:44], v32 offset:256
	;; [unrolled: 1-line block ×3, first 2 shown]
	s_waitcnt lgkmcnt(3)
	v_mul_f32_e32 v15, v48, v14
	v_mul_f32_e32 v14, v35, v14
	v_fmac_f32_e32 v14, v13, v48
	v_fma_f32 v15, v13, v35, -v15
	v_mul_f32_e32 v13, v12, v14
	v_fma_f32 v13, v11, v15, -v13
	v_mul_f32_e32 v14, v11, v14
	s_waitcnt lgkmcnt(1)
	v_mul_f32_e32 v11, v42, v44
	s_mov_b32 s2, 0x2302303
	v_fmac_f32_e32 v14, v12, v15
	v_fma_f32 v11, v41, v43, -v11
	v_mul_f32_e32 v12, v41, v44
	v_mul_hi_u32 v35, v0, s2
	v_fmac_f32_e32 v12, v42, v43
	s_waitcnt lgkmcnt(0)
	v_mul_f32_e32 v32, v11, v46
	v_mul_f32_e32 v15, v12, v46
	v_fmac_f32_e32 v32, v45, v12
	v_fma_f32 v15, v45, v11, -v15
	v_mul_f32_e32 v11, v10, v32
	v_fma_f32 v11, v9, v15, -v11
	v_mul_f32_e32 v12, v9, v32
	v_mul_u32_u24_e32 v9, 0xd0, v35
	s_movk_i32 s2, 0x74
	v_or_b32_e32 v9, v9, v36
	v_cmp_lt_u32_e64 s[2:3], s2, v0
	v_fmac_f32_e32 v12, v10, v15
	v_mul_lo_u32 v10, s16, v9
	v_cndmask_b32_e64 v0, 0, 1, s[4:5]
	v_cndmask_b32_e64 v15, 0, 1, s[0:1]
	s_or_b64 vcc, s[2:3], vcc
	v_cndmask_b32_e32 v0, v15, v0, vcc
	v_add_u32_e32 v15, 13, v9
	v_mul_lo_u32 v15, s16, v15
	v_and_b32_e32 v0, 1, v0
	v_add_lshl_u32 v10, v33, v10, 3
	v_cmp_eq_u32_e32 vcc, 1, v0
	v_cndmask_b32_e32 v0, -1, v10, vcc
	v_readfirstlane_b32 s0, v34
	s_nop 4
	buffer_store_dwordx2 v[1:2], v0, s[8:11], s0 offen
	v_add_lshl_u32 v0, v33, v15, 3
	v_cndmask_b32_e32 v0, -1, v0, vcc
	v_add_u32_e32 v1, 26, v9
	buffer_store_dwordx2 v[3:4], v0, s[8:11], s0 offen
	v_add_u32_e32 v0, 39, v9
	v_mul_lo_u32 v1, s16, v1
	v_mul_lo_u32 v0, s16, v0
	v_add_lshl_u32 v1, v33, v1, 3
	v_add_lshl_u32 v0, v33, v0, 3
	v_cndmask_b32_e32 v1, -1, v1, vcc
	v_cndmask_b32_e32 v0, -1, v0, vcc
	buffer_store_dwordx2 v[5:6], v1, s[8:11], s0 offen
	v_add_u32_e32 v1, 52, v9
	buffer_store_dwordx2 v[7:8], v0, s[8:11], s0 offen
	v_add_u32_e32 v0, 0x41, v9
	v_mul_lo_u32 v1, s16, v1
	v_mul_lo_u32 v0, s16, v0
	v_add_lshl_u32 v1, v33, v1, 3
	v_add_lshl_u32 v0, v33, v0, 3
	v_cndmask_b32_e32 v1, -1, v1, vcc
	v_cndmask_b32_e32 v0, -1, v0, vcc
	buffer_store_dwordx2 v[18:19], v1, s[8:11], s0 offen
	;; [unrolled: 10-line block ×7, first 2 shown]
	buffer_store_dwordx2 v[11:12], v0, s[8:11], s0 offen
	s_endpgm
	.section	.rodata,"a",@progbits
	.p2align	6, 0x0
	.amdhsa_kernel fft_rtc_fwd_len208_factors_13_16_wgs_144_tpt_16_sp_ip_CI_sbcc_twdbase5_3step_dirReg_intrinsicReadWrite
		.amdhsa_group_segment_fixed_size 0
		.amdhsa_private_segment_fixed_size 0
		.amdhsa_kernarg_size 96
		.amdhsa_user_sgpr_count 6
		.amdhsa_user_sgpr_private_segment_buffer 1
		.amdhsa_user_sgpr_dispatch_ptr 0
		.amdhsa_user_sgpr_queue_ptr 0
		.amdhsa_user_sgpr_kernarg_segment_ptr 1
		.amdhsa_user_sgpr_dispatch_id 0
		.amdhsa_user_sgpr_flat_scratch_init 0
		.amdhsa_user_sgpr_private_segment_size 0
		.amdhsa_uses_dynamic_stack 0
		.amdhsa_system_sgpr_private_segment_wavefront_offset 0
		.amdhsa_system_sgpr_workgroup_id_x 1
		.amdhsa_system_sgpr_workgroup_id_y 0
		.amdhsa_system_sgpr_workgroup_id_z 0
		.amdhsa_system_sgpr_workgroup_info 0
		.amdhsa_system_vgpr_workitem_id 0
		.amdhsa_next_free_vgpr 56
		.amdhsa_next_free_sgpr 41
		.amdhsa_reserve_vcc 1
		.amdhsa_reserve_flat_scratch 0
		.amdhsa_float_round_mode_32 0
		.amdhsa_float_round_mode_16_64 0
		.amdhsa_float_denorm_mode_32 3
		.amdhsa_float_denorm_mode_16_64 3
		.amdhsa_dx10_clamp 1
		.amdhsa_ieee_mode 1
		.amdhsa_fp16_overflow 0
		.amdhsa_exception_fp_ieee_invalid_op 0
		.amdhsa_exception_fp_denorm_src 0
		.amdhsa_exception_fp_ieee_div_zero 0
		.amdhsa_exception_fp_ieee_overflow 0
		.amdhsa_exception_fp_ieee_underflow 0
		.amdhsa_exception_fp_ieee_inexact 0
		.amdhsa_exception_int_div_zero 0
	.end_amdhsa_kernel
	.text
.Lfunc_end0:
	.size	fft_rtc_fwd_len208_factors_13_16_wgs_144_tpt_16_sp_ip_CI_sbcc_twdbase5_3step_dirReg_intrinsicReadWrite, .Lfunc_end0-fft_rtc_fwd_len208_factors_13_16_wgs_144_tpt_16_sp_ip_CI_sbcc_twdbase5_3step_dirReg_intrinsicReadWrite
                                        ; -- End function
	.section	.AMDGPU.csdata,"",@progbits
; Kernel info:
; codeLenInByte = 9568
; NumSgprs: 45
; NumVgprs: 56
; ScratchSize: 0
; MemoryBound: 0
; FloatMode: 240
; IeeeMode: 1
; LDSByteSize: 0 bytes/workgroup (compile time only)
; SGPRBlocks: 5
; VGPRBlocks: 13
; NumSGPRsForWavesPerEU: 45
; NumVGPRsForWavesPerEU: 56
; Occupancy: 4
; WaveLimiterHint : 0
; COMPUTE_PGM_RSRC2:SCRATCH_EN: 0
; COMPUTE_PGM_RSRC2:USER_SGPR: 6
; COMPUTE_PGM_RSRC2:TRAP_HANDLER: 0
; COMPUTE_PGM_RSRC2:TGID_X_EN: 1
; COMPUTE_PGM_RSRC2:TGID_Y_EN: 0
; COMPUTE_PGM_RSRC2:TGID_Z_EN: 0
; COMPUTE_PGM_RSRC2:TIDIG_COMP_CNT: 0
	.type	__hip_cuid_c959d4911d587d,@object ; @__hip_cuid_c959d4911d587d
	.section	.bss,"aw",@nobits
	.globl	__hip_cuid_c959d4911d587d
__hip_cuid_c959d4911d587d:
	.byte	0                               ; 0x0
	.size	__hip_cuid_c959d4911d587d, 1

	.ident	"AMD clang version 19.0.0git (https://github.com/RadeonOpenCompute/llvm-project roc-6.4.0 25133 c7fe45cf4b819c5991fe208aaa96edf142730f1d)"
	.section	".note.GNU-stack","",@progbits
	.addrsig
	.addrsig_sym __hip_cuid_c959d4911d587d
	.amdgpu_metadata
---
amdhsa.kernels:
  - .args:
      - .actual_access:  read_only
        .address_space:  global
        .offset:         0
        .size:           8
        .value_kind:     global_buffer
      - .address_space:  global
        .offset:         8
        .size:           8
        .value_kind:     global_buffer
      - .offset:         16
        .size:           8
        .value_kind:     by_value
      - .actual_access:  read_only
        .address_space:  global
        .offset:         24
        .size:           8
        .value_kind:     global_buffer
      - .actual_access:  read_only
        .address_space:  global
        .offset:         32
        .size:           8
        .value_kind:     global_buffer
      - .offset:         40
        .size:           8
        .value_kind:     by_value
      - .actual_access:  read_only
        .address_space:  global
        .offset:         48
        .size:           8
        .value_kind:     global_buffer
      - .actual_access:  read_only
        .address_space:  global
        .offset:         56
        .size:           8
        .value_kind:     global_buffer
      - .offset:         64
        .size:           4
        .value_kind:     by_value
      - .actual_access:  read_only
        .address_space:  global
        .offset:         72
        .size:           8
        .value_kind:     global_buffer
      - .actual_access:  read_only
        .address_space:  global
        .offset:         80
        .size:           8
        .value_kind:     global_buffer
      - .address_space:  global
        .offset:         88
        .size:           8
        .value_kind:     global_buffer
    .group_segment_fixed_size: 0
    .kernarg_segment_align: 8
    .kernarg_segment_size: 96
    .language:       OpenCL C
    .language_version:
      - 2
      - 0
    .max_flat_workgroup_size: 144
    .name:           fft_rtc_fwd_len208_factors_13_16_wgs_144_tpt_16_sp_ip_CI_sbcc_twdbase5_3step_dirReg_intrinsicReadWrite
    .private_segment_fixed_size: 0
    .sgpr_count:     45
    .sgpr_spill_count: 0
    .symbol:         fft_rtc_fwd_len208_factors_13_16_wgs_144_tpt_16_sp_ip_CI_sbcc_twdbase5_3step_dirReg_intrinsicReadWrite.kd
    .uniform_work_group_size: 1
    .uses_dynamic_stack: false
    .vgpr_count:     56
    .vgpr_spill_count: 0
    .wavefront_size: 64
amdhsa.target:   amdgcn-amd-amdhsa--gfx906
amdhsa.version:
  - 1
  - 2
...

	.end_amdgpu_metadata
